;; amdgpu-corpus repo=ROCm/rocFFT kind=compiled arch=gfx1030 opt=O3
	.text
	.amdgcn_target "amdgcn-amd-amdhsa--gfx1030"
	.amdhsa_code_object_version 6
	.protected	fft_rtc_back_len44_factors_11_4_wgs_64_tpt_4_halfLds_dp_op_CI_CI_sbrr_dirReg ; -- Begin function fft_rtc_back_len44_factors_11_4_wgs_64_tpt_4_halfLds_dp_op_CI_CI_sbrr_dirReg
	.globl	fft_rtc_back_len44_factors_11_4_wgs_64_tpt_4_halfLds_dp_op_CI_CI_sbrr_dirReg
	.p2align	8
	.type	fft_rtc_back_len44_factors_11_4_wgs_64_tpt_4_halfLds_dp_op_CI_CI_sbrr_dirReg,@function
fft_rtc_back_len44_factors_11_4_wgs_64_tpt_4_halfLds_dp_op_CI_CI_sbrr_dirReg: ; @fft_rtc_back_len44_factors_11_4_wgs_64_tpt_4_halfLds_dp_op_CI_CI_sbrr_dirReg
; %bb.0:
	s_clause 0x2
	s_load_dwordx4 s[16:19], s[4:5], 0x18
	s_load_dwordx4 s[8:11], s[4:5], 0x0
	;; [unrolled: 1-line block ×3, first 2 shown]
	v_lshrrev_b32_e32 v48, 2, v0
	v_mov_b32_e32 v1, 0
	v_mov_b32_e32 v4, 0
	;; [unrolled: 1-line block ×3, first 2 shown]
	s_waitcnt lgkmcnt(0)
	s_load_dwordx2 s[20:21], s[16:17], 0x0
	s_load_dwordx2 s[2:3], s[18:19], 0x0
	v_cmp_lt_u64_e64 s0, s[10:11], 2
	v_lshl_or_b32 v6, s6, 4, v48
	v_mov_b32_e32 v7, v1
	s_and_b32 vcc_lo, exec_lo, s0
	s_cbranch_vccnz .LBB0_8
; %bb.1:
	s_load_dwordx2 s[0:1], s[4:5], 0x10
	v_mov_b32_e32 v4, 0
	v_mov_b32_e32 v5, 0
	s_add_u32 s6, s18, 8
	s_addc_u32 s7, s19, 0
	s_add_u32 s22, s16, 8
	s_addc_u32 s23, s17, 0
	v_mov_b32_e32 v61, v5
	v_mov_b32_e32 v60, v4
	s_mov_b64 s[26:27], 1
	s_waitcnt lgkmcnt(0)
	s_add_u32 s24, s0, 8
	s_addc_u32 s25, s1, 0
.LBB0_2:                                ; =>This Inner Loop Header: Depth=1
	s_load_dwordx2 s[28:29], s[24:25], 0x0
                                        ; implicit-def: $vgpr62_vgpr63
	s_mov_b32 s0, exec_lo
	s_waitcnt lgkmcnt(0)
	v_or_b32_e32 v2, s29, v7
	v_cmpx_ne_u64_e32 0, v[1:2]
	s_xor_b32 s1, exec_lo, s0
	s_cbranch_execz .LBB0_4
; %bb.3:                                ;   in Loop: Header=BB0_2 Depth=1
	v_cvt_f32_u32_e32 v2, s28
	v_cvt_f32_u32_e32 v3, s29
	s_sub_u32 s0, 0, s28
	s_subb_u32 s30, 0, s29
	v_fmac_f32_e32 v2, 0x4f800000, v3
	v_rcp_f32_e32 v2, v2
	v_mul_f32_e32 v2, 0x5f7ffffc, v2
	v_mul_f32_e32 v3, 0x2f800000, v2
	v_trunc_f32_e32 v3, v3
	v_fmac_f32_e32 v2, 0xcf800000, v3
	v_cvt_u32_f32_e32 v3, v3
	v_cvt_u32_f32_e32 v2, v2
	v_mul_lo_u32 v8, s0, v3
	v_mul_hi_u32 v9, s0, v2
	v_mul_lo_u32 v10, s30, v2
	v_add_nc_u32_e32 v8, v9, v8
	v_mul_lo_u32 v9, s0, v2
	v_add_nc_u32_e32 v8, v8, v10
	v_mul_hi_u32 v10, v2, v9
	v_mul_lo_u32 v11, v2, v8
	v_mul_hi_u32 v12, v2, v8
	v_mul_hi_u32 v13, v3, v9
	v_mul_lo_u32 v9, v3, v9
	v_mul_hi_u32 v14, v3, v8
	v_mul_lo_u32 v8, v3, v8
	v_add_co_u32 v10, vcc_lo, v10, v11
	v_add_co_ci_u32_e32 v11, vcc_lo, 0, v12, vcc_lo
	v_add_co_u32 v9, vcc_lo, v10, v9
	v_add_co_ci_u32_e32 v9, vcc_lo, v11, v13, vcc_lo
	v_add_co_ci_u32_e32 v10, vcc_lo, 0, v14, vcc_lo
	v_add_co_u32 v8, vcc_lo, v9, v8
	v_add_co_ci_u32_e32 v9, vcc_lo, 0, v10, vcc_lo
	v_add_co_u32 v2, vcc_lo, v2, v8
	v_add_co_ci_u32_e32 v3, vcc_lo, v3, v9, vcc_lo
	v_mul_hi_u32 v8, s0, v2
	v_mul_lo_u32 v10, s30, v2
	v_mul_lo_u32 v9, s0, v3
	v_add_nc_u32_e32 v8, v8, v9
	v_mul_lo_u32 v9, s0, v2
	v_add_nc_u32_e32 v8, v8, v10
	v_mul_hi_u32 v10, v2, v9
	v_mul_lo_u32 v11, v2, v8
	v_mul_hi_u32 v12, v2, v8
	v_mul_hi_u32 v13, v3, v9
	v_mul_lo_u32 v9, v3, v9
	v_mul_hi_u32 v14, v3, v8
	v_mul_lo_u32 v8, v3, v8
	v_add_co_u32 v10, vcc_lo, v10, v11
	v_add_co_ci_u32_e32 v11, vcc_lo, 0, v12, vcc_lo
	v_add_co_u32 v9, vcc_lo, v10, v9
	v_add_co_ci_u32_e32 v9, vcc_lo, v11, v13, vcc_lo
	v_add_co_ci_u32_e32 v10, vcc_lo, 0, v14, vcc_lo
	v_add_co_u32 v8, vcc_lo, v9, v8
	v_add_co_ci_u32_e32 v9, vcc_lo, 0, v10, vcc_lo
	v_add_co_u32 v8, vcc_lo, v2, v8
	v_add_co_ci_u32_e32 v10, vcc_lo, v3, v9, vcc_lo
	v_mul_hi_u32 v12, v6, v8
	v_mad_u64_u32 v[8:9], null, v7, v8, 0
	v_mad_u64_u32 v[2:3], null, v6, v10, 0
	v_mad_u64_u32 v[10:11], null, v7, v10, 0
	v_add_co_u32 v2, vcc_lo, v12, v2
	v_add_co_ci_u32_e32 v3, vcc_lo, 0, v3, vcc_lo
	v_add_co_u32 v2, vcc_lo, v2, v8
	v_add_co_ci_u32_e32 v2, vcc_lo, v3, v9, vcc_lo
	v_add_co_ci_u32_e32 v3, vcc_lo, 0, v11, vcc_lo
	v_add_co_u32 v8, vcc_lo, v2, v10
	v_add_co_ci_u32_e32 v9, vcc_lo, 0, v3, vcc_lo
	v_mul_lo_u32 v10, s29, v8
	v_mad_u64_u32 v[2:3], null, s28, v8, 0
	v_mul_lo_u32 v11, s28, v9
	v_sub_co_u32 v2, vcc_lo, v6, v2
	v_add3_u32 v3, v3, v11, v10
	v_sub_nc_u32_e32 v10, v7, v3
	v_subrev_co_ci_u32_e64 v10, s0, s29, v10, vcc_lo
	v_add_co_u32 v11, s0, v8, 2
	v_add_co_ci_u32_e64 v12, s0, 0, v9, s0
	v_sub_co_u32 v13, s0, v2, s28
	v_sub_co_ci_u32_e32 v3, vcc_lo, v7, v3, vcc_lo
	v_subrev_co_ci_u32_e64 v10, s0, 0, v10, s0
	v_cmp_le_u32_e32 vcc_lo, s28, v13
	v_cmp_eq_u32_e64 s0, s29, v3
	v_cndmask_b32_e64 v13, 0, -1, vcc_lo
	v_cmp_le_u32_e32 vcc_lo, s29, v10
	v_cndmask_b32_e64 v14, 0, -1, vcc_lo
	v_cmp_le_u32_e32 vcc_lo, s28, v2
	;; [unrolled: 2-line block ×3, first 2 shown]
	v_cndmask_b32_e64 v15, 0, -1, vcc_lo
	v_cmp_eq_u32_e32 vcc_lo, s29, v10
	v_cndmask_b32_e64 v2, v15, v2, s0
	v_cndmask_b32_e32 v10, v14, v13, vcc_lo
	v_add_co_u32 v13, vcc_lo, v8, 1
	v_add_co_ci_u32_e32 v14, vcc_lo, 0, v9, vcc_lo
	v_cmp_ne_u32_e32 vcc_lo, 0, v10
	v_cndmask_b32_e32 v3, v14, v12, vcc_lo
	v_cndmask_b32_e32 v10, v13, v11, vcc_lo
	v_cmp_ne_u32_e32 vcc_lo, 0, v2
	v_cndmask_b32_e32 v63, v9, v3, vcc_lo
	v_cndmask_b32_e32 v62, v8, v10, vcc_lo
.LBB0_4:                                ;   in Loop: Header=BB0_2 Depth=1
	s_andn2_saveexec_b32 s0, s1
	s_cbranch_execz .LBB0_6
; %bb.5:                                ;   in Loop: Header=BB0_2 Depth=1
	v_cvt_f32_u32_e32 v2, s28
	s_sub_i32 s1, 0, s28
	v_mov_b32_e32 v63, v1
	v_rcp_iflag_f32_e32 v2, v2
	v_mul_f32_e32 v2, 0x4f7ffffe, v2
	v_cvt_u32_f32_e32 v2, v2
	v_mul_lo_u32 v3, s1, v2
	v_mul_hi_u32 v3, v2, v3
	v_add_nc_u32_e32 v2, v2, v3
	v_mul_hi_u32 v2, v6, v2
	v_mul_lo_u32 v3, v2, s28
	v_add_nc_u32_e32 v8, 1, v2
	v_sub_nc_u32_e32 v3, v6, v3
	v_subrev_nc_u32_e32 v9, s28, v3
	v_cmp_le_u32_e32 vcc_lo, s28, v3
	v_cndmask_b32_e32 v3, v3, v9, vcc_lo
	v_cndmask_b32_e32 v2, v2, v8, vcc_lo
	v_cmp_le_u32_e32 vcc_lo, s28, v3
	v_add_nc_u32_e32 v8, 1, v2
	v_cndmask_b32_e32 v62, v2, v8, vcc_lo
.LBB0_6:                                ;   in Loop: Header=BB0_2 Depth=1
	s_or_b32 exec_lo, exec_lo, s0
	v_mul_lo_u32 v8, v63, s28
	v_mul_lo_u32 v9, v62, s29
	s_load_dwordx2 s[0:1], s[22:23], 0x0
	v_mad_u64_u32 v[2:3], null, v62, s28, 0
	s_load_dwordx2 s[28:29], s[6:7], 0x0
	s_add_u32 s26, s26, 1
	s_addc_u32 s27, s27, 0
	s_add_u32 s6, s6, 8
	s_addc_u32 s7, s7, 0
	s_add_u32 s22, s22, 8
	v_add3_u32 v3, v3, v9, v8
	v_sub_co_u32 v2, vcc_lo, v6, v2
	s_addc_u32 s23, s23, 0
	s_add_u32 s24, s24, 8
	v_sub_co_ci_u32_e32 v3, vcc_lo, v7, v3, vcc_lo
	s_addc_u32 s25, s25, 0
	s_waitcnt lgkmcnt(0)
	v_mul_lo_u32 v6, s0, v3
	v_mul_lo_u32 v7, s1, v2
	v_mad_u64_u32 v[4:5], null, s0, v2, v[4:5]
	v_mul_lo_u32 v3, s28, v3
	v_mul_lo_u32 v8, s29, v2
	v_mad_u64_u32 v[60:61], null, s28, v2, v[60:61]
	v_cmp_ge_u64_e64 s0, s[26:27], s[10:11]
	v_add3_u32 v5, v7, v5, v6
	v_add3_u32 v61, v8, v61, v3
	s_and_b32 vcc_lo, exec_lo, s0
	s_cbranch_vccnz .LBB0_9
; %bb.7:                                ;   in Loop: Header=BB0_2 Depth=1
	v_mov_b32_e32 v6, v62
	v_mov_b32_e32 v7, v63
	s_branch .LBB0_2
.LBB0_8:
	v_mov_b32_e32 v61, v5
	v_mov_b32_e32 v63, v7
	;; [unrolled: 1-line block ×4, first 2 shown]
.LBB0_9:
	s_load_dwordx2 s[0:1], s[4:5], 0x28
	s_lshl_b64 s[6:7], s[10:11], 3
	v_and_b32_e32 v72, 3, v0
	s_add_u32 s4, s18, s6
	s_addc_u32 s5, s19, s7
                                        ; implicit-def: $vgpr74
                                        ; implicit-def: $vgpr73
	s_waitcnt lgkmcnt(0)
	v_cmp_gt_u64_e32 vcc_lo, s[0:1], v[62:63]
	v_cmp_le_u64_e64 s0, s[0:1], v[62:63]
	s_and_saveexec_b32 s1, s0
	s_xor_b32 s0, exec_lo, s1
; %bb.10:
	v_and_b32_e32 v72, 3, v0
                                        ; implicit-def: $vgpr4_vgpr5
	v_or_b32_e32 v74, 4, v72
	v_or_b32_e32 v73, 8, v72
; %bb.11:
	s_or_saveexec_b32 s10, s0
                                        ; implicit-def: $vgpr22_vgpr23
                                        ; implicit-def: $vgpr26_vgpr27
                                        ; implicit-def: $vgpr42_vgpr43
                                        ; implicit-def: $vgpr38_vgpr39
                                        ; implicit-def: $vgpr14_vgpr15
                                        ; implicit-def: $vgpr6_vgpr7
                                        ; implicit-def: $vgpr18_vgpr19
                                        ; implicit-def: $vgpr30_vgpr31
                                        ; implicit-def: $vgpr46_vgpr47
                                        ; implicit-def: $vgpr34_vgpr35
                                        ; implicit-def: $vgpr2_vgpr3
	s_xor_b32 exec_lo, exec_lo, s10
	s_cbranch_execz .LBB0_13
; %bb.12:
	s_add_u32 s0, s16, s6
	s_addc_u32 s1, s17, s7
	v_or_b32_e32 v74, 4, v72
	s_load_dwordx2 s[0:1], s[0:1], 0x0
	v_mad_u64_u32 v[0:1], null, s20, v72, 0
	v_or_b32_e32 v73, 8, v72
	v_mad_u64_u32 v[2:3], null, s20, v74, 0
	v_lshlrev_b64 v[4:5], 4, v[4:5]
	v_or_b32_e32 v18, 12, v72
	v_mad_u64_u32 v[6:7], null, s20, v73, 0
	v_or_b32_e32 v19, 16, v72
	v_or_b32_e32 v36, 32, v72
	v_mad_u64_u32 v[12:13], null, s21, v72, v[1:2]
	v_mad_u64_u32 v[10:11], null, s20, v18, 0
	;; [unrolled: 1-line block ×3, first 2 shown]
	v_or_b32_e32 v37, 36, v72
	v_or_b32_e32 v38, 40, v72
	s_waitcnt lgkmcnt(0)
	v_mul_lo_u32 v15, s1, v62
	v_mul_lo_u32 v16, s0, v63
	v_mad_u64_u32 v[8:9], null, s0, v62, 0
	v_mov_b32_e32 v1, v12
	v_or_b32_e32 v12, 20, v72
	v_lshlrev_b64 v[0:1], 4, v[0:1]
	v_add3_u32 v9, v9, v16, v15
	v_mad_u64_u32 v[15:16], null, s21, v74, v[3:4]
	v_lshlrev_b64 v[8:9], 4, v[8:9]
	v_mov_b32_e32 v3, v15
	v_mad_u64_u32 v[16:17], null, s21, v73, v[7:8]
	v_add_co_u32 v7, s0, s12, v8
	v_add_co_ci_u32_e64 v8, s0, s13, v9, s0
	v_lshlrev_b64 v[2:3], 4, v[2:3]
	v_add_co_u32 v30, s0, v7, v4
	v_add_co_ci_u32_e64 v31, s0, v8, v5, s0
	v_mad_u64_u32 v[8:9], null, s21, v18, v[11:12]
	v_add_co_u32 v0, s0, v30, v0
	v_add_co_ci_u32_e64 v1, s0, v31, v1, s0
	v_add_co_u32 v4, s0, v30, v2
	v_mov_b32_e32 v7, v16
	v_mad_u64_u32 v[15:16], null, s20, v12, 0
	v_mov_b32_e32 v9, v14
	v_add_co_ci_u32_e64 v5, s0, v31, v3, s0
	v_mov_b32_e32 v11, v8
	s_clause 0x1
	global_load_dwordx4 v[0:3], v[0:1], off
	global_load_dwordx4 v[20:23], v[4:5], off
	v_lshlrev_b64 v[4:5], 4, v[6:7]
	v_mad_u64_u32 v[6:7], null, s21, v19, v[9:10]
	v_lshlrev_b64 v[8:9], 4, v[10:11]
	v_mov_b32_e32 v7, v16
	v_or_b32_e32 v17, 24, v72
	v_add_co_u32 v4, s0, v30, v4
	v_add_co_ci_u32_e64 v5, s0, v31, v5, s0
	v_mov_b32_e32 v14, v6
	v_mad_u64_u32 v[6:7], null, s21, v12, v[7:8]
	v_mad_u64_u32 v[11:12], null, s20, v17, 0
	v_add_co_u32 v7, s0, v30, v8
	v_add_co_ci_u32_e64 v8, s0, v31, v9, s0
	v_mov_b32_e32 v16, v6
	v_lshlrev_b64 v[9:10], 4, v[13:14]
	s_clause 0x1
	global_load_dwordx4 v[24:27], v[4:5], off
	global_load_dwordx4 v[32:35], v[7:8], off
	v_mov_b32_e32 v6, v12
	v_or_b32_e32 v19, 28, v72
	v_lshlrev_b64 v[7:8], 4, v[15:16]
	v_mad_u64_u32 v[15:16], null, s20, v36, 0
	v_add_co_u32 v4, s0, v30, v9
	v_add_co_ci_u32_e64 v5, s0, v31, v10, s0
	v_mad_u64_u32 v[9:10], null, s21, v17, v[6:7]
	v_mad_u64_u32 v[13:14], null, s20, v19, 0
	v_add_co_u32 v6, s0, v30, v7
	v_add_co_ci_u32_e64 v7, s0, v31, v8, s0
	v_mov_b32_e32 v12, v9
	v_mov_b32_e32 v9, v16
	;; [unrolled: 1-line block ×3, first 2 shown]
	v_mad_u64_u32 v[17:18], null, s20, v37, 0
	s_clause 0x1
	global_load_dwordx4 v[44:47], v[4:5], off
	global_load_dwordx4 v[40:43], v[6:7], off
	v_lshlrev_b64 v[5:6], 4, v[11:12]
	v_mad_u64_u32 v[28:29], null, s21, v19, v[8:9]
	v_mad_u64_u32 v[8:9], null, s21, v36, v[9:10]
	v_mad_u64_u32 v[9:10], null, s20, v38, 0
	v_mov_b32_e32 v4, v18
	v_mov_b32_e32 v14, v28
	;; [unrolled: 1-line block ×3, first 2 shown]
	v_mad_u64_u32 v[7:8], null, s21, v37, v[4:5]
	v_mov_b32_e32 v4, v10
	v_add_co_u32 v5, s0, v30, v5
	v_lshlrev_b64 v[10:11], 4, v[13:14]
	v_add_co_ci_u32_e64 v6, s0, v31, v6, s0
	v_mad_u64_u32 v[12:13], null, s21, v38, v[4:5]
	v_mov_b32_e32 v18, v7
	v_lshlrev_b64 v[13:14], 4, v[15:16]
	v_add_co_u32 v7, s0, v30, v10
	v_add_co_ci_u32_e64 v8, s0, v31, v11, s0
	v_mov_b32_e32 v10, v12
	v_lshlrev_b64 v[15:16], 4, v[17:18]
	v_add_co_u32 v11, s0, v30, v13
	v_add_co_ci_u32_e64 v12, s0, v31, v14, s0
	v_lshlrev_b64 v[9:10], 4, v[9:10]
	v_add_co_u32 v13, s0, v30, v15
	v_add_co_ci_u32_e64 v14, s0, v31, v16, s0
	v_add_co_u32 v9, s0, v30, v9
	v_add_co_ci_u32_e64 v10, s0, v31, v10, s0
	s_clause 0x4
	global_load_dwordx4 v[36:39], v[5:6], off
	global_load_dwordx4 v[28:31], v[7:8], off
	;; [unrolled: 1-line block ×5, first 2 shown]
.LBB0_13:
	s_or_b32 exec_lo, exec_lo, s10
	s_waitcnt vmcnt(9)
	v_add_f64 v[8:9], v[20:21], v[0:1]
	s_waitcnt vmcnt(0)
	v_add_f64 v[10:11], v[22:23], -v[6:7]
	s_mov_b32 s28, 0x8eee2c13
	s_mov_b32 s20, 0x43842ef
	;; [unrolled: 1-line block ×8, first 2 shown]
	v_add_f64 v[49:50], v[20:21], v[4:5]
	v_add_f64 v[51:52], v[26:27], -v[14:15]
	s_mov_b32 s38, 0xf8bb580b
	s_mov_b32 s39, 0xbfe14ced
	;; [unrolled: 1-line block ×10, first 2 shown]
	v_add_f64 v[8:9], v[24:25], v[8:9]
	v_mul_f64 v[75:76], v[10:11], s[28:29]
	v_mul_f64 v[79:80], v[10:11], s[20:21]
	v_mul_f64 v[81:82], v[10:11], s[24:25]
	v_mul_f64 v[83:84], v[10:11], s[26:27]
	v_mul_f64 v[10:11], v[10:11], s[38:39]
	s_mov_b32 s31, 0x3fe14ced
	s_mov_b32 s36, s26
	;; [unrolled: 1-line block ×6, first 2 shown]
	v_add_f64 v[53:54], v[24:25], v[12:13]
	v_add_f64 v[55:56], v[34:35], -v[18:19]
	v_mul_f64 v[77:78], v[51:52], s[24:25]
	v_mul_f64 v[85:86], v[51:52], s[36:37]
	;; [unrolled: 1-line block ×5, first 2 shown]
	s_mov_b32 s18, 0x8764f0ba
	s_mov_b32 s19, 0x3feaeb8c
	;; [unrolled: 1-line block ×3, first 2 shown]
	v_add_f64 v[8:9], v[32:33], v[8:9]
	v_fma_f64 v[115:116], v[49:50], s[6:7], v[75:76]
	v_fma_f64 v[117:118], v[49:50], s[10:11], v[79:80]
	;; [unrolled: 1-line block ×4, first 2 shown]
	v_fma_f64 v[81:82], v[49:50], s[12:13], -v[81:82]
	v_fma_f64 v[83:84], v[49:50], s[16:17], -v[83:84]
	;; [unrolled: 1-line block ×4, first 2 shown]
	v_fma_f64 v[123:124], v[49:50], s[18:19], v[10:11]
	v_fma_f64 v[10:11], v[49:50], s[18:19], -v[10:11]
	s_mov_b32 s22, s28
	v_add_f64 v[57:58], v[16:17], v[32:33]
	v_add_f64 v[64:65], v[46:47], -v[30:31]
	v_mul_f64 v[87:88], v[55:56], s[36:37]
	v_mul_f64 v[89:90], v[55:56], s[22:23]
	;; [unrolled: 1-line block ×5, first 2 shown]
	v_fma_f64 v[55:56], v[53:54], s[12:13], v[77:78]
	v_fma_f64 v[125:126], v[53:54], s[16:17], v[85:86]
	;; [unrolled: 1-line block ×3, first 2 shown]
	v_add_f64 v[8:9], v[44:45], v[8:9]
	v_fma_f64 v[129:130], v[53:54], s[18:19], v[101:102]
	v_fma_f64 v[99:100], v[53:54], s[10:11], -v[99:100]
	v_fma_f64 v[101:102], v[53:54], s[18:19], -v[101:102]
	v_fma_f64 v[131:132], v[53:54], s[6:7], v[51:52]
	v_fma_f64 v[51:52], v[53:54], s[6:7], -v[51:52]
	v_fma_f64 v[77:78], v[53:54], s[12:13], -v[77:78]
	;; [unrolled: 1-line block ×3, first 2 shown]
	v_add_f64 v[85:86], v[115:116], v[0:1]
	v_add_f64 v[115:116], v[117:118], v[0:1]
	;; [unrolled: 1-line block ×11, first 2 shown]
	v_add_f64 v[68:69], v[42:43], -v[38:39]
	v_mul_f64 v[91:92], v[64:65], s[34:35]
	v_mul_f64 v[93:94], v[64:65], s[38:39]
	v_add_f64 v[8:9], v[40:41], v[8:9]
	v_mul_f64 v[107:108], v[64:65], s[26:27]
	v_mul_f64 v[109:110], v[64:65], s[22:23]
	;; [unrolled: 1-line block ×3, first 2 shown]
	v_fma_f64 v[64:65], v[57:58], s[16:17], v[87:88]
	v_fma_f64 v[123:124], v[57:58], s[6:7], v[89:90]
	;; [unrolled: 1-line block ×4, first 2 shown]
	v_add_f64 v[55:56], v[55:56], v[85:86]
	v_add_f64 v[85:86], v[125:126], v[115:116]
	v_fma_f64 v[103:104], v[57:58], s[18:19], -v[103:104]
	v_fma_f64 v[105:106], v[57:58], s[12:13], -v[105:106]
	v_fma_f64 v[137:138], v[57:58], s[10:11], v[49:50]
	v_fma_f64 v[49:50], v[57:58], s[10:11], -v[49:50]
	v_fma_f64 v[87:88], v[57:58], s[16:17], -v[87:88]
	;; [unrolled: 1-line block ×3, first 2 shown]
	v_add_f64 v[89:90], v[127:128], v[117:118]
	v_add_f64 v[115:116], v[129:130], v[119:120]
	;; [unrolled: 1-line block ×10, first 2 shown]
	v_mul_f64 v[95:96], v[68:69], s[30:31]
	v_mul_f64 v[97:98], v[68:69], s[24:25]
	;; [unrolled: 1-line block ×5, first 2 shown]
	v_fma_f64 v[68:69], v[66:67], s[10:11], v[91:92]
	v_fma_f64 v[77:78], v[66:67], s[18:19], v[93:94]
	v_add_f64 v[55:56], v[64:65], v[55:56]
	v_add_f64 v[64:65], v[123:124], v[85:86]
	v_fma_f64 v[79:80], v[66:67], s[16:17], v[107:108]
	v_fma_f64 v[101:102], v[66:67], s[6:7], v[109:110]
	v_fma_f64 v[107:108], v[66:67], s[16:17], -v[107:108]
	v_add_f64 v[85:86], v[133:134], v[89:90]
	v_add_f64 v[89:90], v[135:136], v[115:116]
	v_fma_f64 v[109:110], v[66:67], s[6:7], -v[109:110]
	v_add_f64 v[81:82], v[103:104], v[81:82]
	v_add_f64 v[83:84], v[105:106], v[83:84]
	v_fma_f64 v[117:118], v[66:67], s[12:13], v[10:11]
	v_add_f64 v[8:9], v[28:29], v[8:9]
	v_fma_f64 v[10:11], v[66:67], s[12:13], -v[10:11]
	v_fma_f64 v[91:92], v[66:67], s[10:11], -v[91:92]
	;; [unrolled: 1-line block ×3, first 2 shown]
	v_add_f64 v[75:76], v[87:88], v[75:76]
	v_add_f64 v[53:54], v[57:58], v[53:54]
	v_add_f64 v[0:1], v[49:50], v[0:1]
	v_add_f64 v[93:94], v[137:138], v[99:100]
	v_fma_f64 v[49:50], v[70:71], s[18:19], v[95:96]
	v_fma_f64 v[57:58], v[70:71], s[12:13], v[97:98]
	;; [unrolled: 1-line block ×3, first 2 shown]
	v_add_f64 v[55:56], v[68:69], v[55:56]
	v_add_f64 v[64:65], v[77:78], v[64:65]
	v_fma_f64 v[99:100], v[70:71], s[10:11], v[113:114]
	v_fma_f64 v[103:104], v[70:71], s[6:7], -v[111:112]
	v_fma_f64 v[105:106], v[70:71], s[10:11], -v[113:114]
	v_add_f64 v[68:69], v[79:80], v[85:86]
	v_add_f64 v[77:78], v[101:102], v[89:90]
	v_fma_f64 v[111:112], v[70:71], s[16:17], v[51:52]
	v_add_f64 v[79:80], v[107:108], v[81:82]
	v_add_f64 v[81:82], v[109:110], v[83:84]
	v_fma_f64 v[51:52], v[70:71], s[16:17], -v[51:52]
	v_add_f64 v[8:9], v[16:17], v[8:9]
	v_fma_f64 v[95:96], v[70:71], s[18:19], -v[95:96]
	v_fma_f64 v[70:71], v[70:71], s[12:13], -v[97:98]
	s_load_dwordx2 s[4:5], s[4:5], 0x0
	v_add_f64 v[75:76], v[91:92], v[75:76]
	v_add_f64 v[53:54], v[66:67], v[53:54]
	;; [unrolled: 1-line block ×4, first 2 shown]
	v_cmp_eq_u32_e64 s0, 3, v72
	v_cmp_ne_u32_e64 s1, 3, v72
	v_add_f64 v[49:50], v[49:50], v[55:56]
	v_add_f64 v[55:56], v[57:58], v[64:65]
	;; [unrolled: 1-line block ×12, first 2 shown]
	v_mul_u32_u24_e32 v66, 44, v48
	v_lshl_add_u32 v48, v66, 3, 0
	v_mad_u32_u24 v76, 0x58, v72, v48
	v_lshl_add_u32 v77, v72, 3, v48
	v_lshl_add_u32 v78, v74, 3, v48
	ds_write2_b64 v76, v[49:50], v[55:56] offset0:2 offset1:3
	ds_write2_b64 v76, v[57:58], v[68:69] offset0:4 offset1:5
	;; [unrolled: 1-line block ×4, first 2 shown]
	ds_write_b64 v76, v[10:11] offset:80
	ds_write2_b64 v76, v[0:1], v[83:84] offset1:1
	v_mad_i32_i24 v75, 0xffffffb0, v72, v76
	s_waitcnt lgkmcnt(0)
	s_barrier
	buffer_gl0_inv
	ds_read_b64 v[70:71], v77
	ds_read_b64 v[68:69], v78
	ds_read2_b64 v[52:55], v75 offset0:11 offset1:15
	ds_read2_b64 v[48:51], v75 offset0:22 offset1:26
	;; [unrolled: 1-line block ×3, first 2 shown]
	v_lshlrev_b32_e32 v79, 3, v66
	v_lshlrev_b32_e32 v80, 3, v73
                                        ; implicit-def: $vgpr66_vgpr67
	s_and_saveexec_b32 s33, s1
	s_cbranch_execz .LBB0_15
; %bb.14:
	v_add3_u32 v0, 0, v80, v79
	ds_read2_b64 v[8:11], v75 offset0:19 offset1:30
	ds_read_b64 v[64:65], v0
	ds_read_b64 v[66:67], v75 offset:328
.LBB0_15:
	s_or_b32 exec_lo, exec_lo, s33
	v_add_f64 v[0:1], v[22:23], v[2:3]
	v_add_f64 v[4:5], v[20:21], -v[4:5]
	v_add_f64 v[12:13], v[24:25], -v[12:13]
	v_add_f64 v[20:21], v[22:23], v[6:7]
	v_add_f64 v[22:23], v[44:45], -v[28:29]
	v_add_f64 v[24:25], v[26:27], v[14:15]
	;; [unrolled: 2-line block ×3, first 2 shown]
	v_add_f64 v[32:33], v[42:43], v[38:39]
	s_waitcnt lgkmcnt(0)
	s_barrier
	buffer_gl0_inv
	v_add_f64 v[0:1], v[26:27], v[0:1]
	v_add_f64 v[26:27], v[18:19], v[34:35]
	v_mul_f64 v[44:45], v[4:5], s[20:21]
	v_mul_f64 v[81:82], v[4:5], s[24:25]
	v_mul_f64 v[83:84], v[12:13], s[28:29]
	v_mul_f64 v[85:86], v[12:13], s[24:25]
	v_mul_f64 v[87:88], v[12:13], s[36:37]
	v_mul_f64 v[89:90], v[12:13], s[34:35]
	v_mul_f64 v[12:13], v[12:13], s[30:31]
	v_mul_f64 v[91:92], v[16:17], s[20:21]
	v_mul_f64 v[93:94], v[16:17], s[22:23]
	v_mul_f64 v[95:96], v[16:17], s[38:39]
	v_mul_f64 v[97:98], v[22:23], s[24:25]
	v_mul_f64 v[99:100], v[22:23], s[34:35]
	v_mul_f64 v[101:102], v[22:23], s[38:39]
	v_mul_f64 v[103:104], v[22:23], s[26:27]
	v_mul_f64 v[22:23], v[22:23], s[22:23]
	v_add_f64 v[0:1], v[34:35], v[0:1]
	v_add_f64 v[34:35], v[40:41], -v[36:37]
	v_mul_f64 v[36:37], v[4:5], s[38:39]
	v_mul_f64 v[40:41], v[4:5], s[28:29]
	;; [unrolled: 1-line block ×3, first 2 shown]
	v_fma_f64 v[113:114], v[20:21], s[10:11], -v[44:45]
	v_fma_f64 v[115:116], v[20:21], s[12:13], -v[81:82]
	v_fma_f64 v[81:82], v[20:21], s[12:13], v[81:82]
	v_fma_f64 v[44:45], v[20:21], s[10:11], v[44:45]
	v_fma_f64 v[119:120], v[24:25], s[12:13], -v[85:86]
	v_fma_f64 v[85:86], v[24:25], s[12:13], v[85:86]
	v_fma_f64 v[121:122], v[24:25], s[16:17], -v[87:88]
	;; [unrolled: 2-line block ×6, first 2 shown]
	v_fma_f64 v[95:96], v[26:27], s[18:19], v[95:96]
	v_add_f64 v[0:1], v[46:47], v[0:1]
	v_mul_f64 v[46:47], v[16:17], s[36:37]
	v_fma_f64 v[109:110], v[20:21], s[18:19], -v[36:37]
	v_fma_f64 v[111:112], v[20:21], s[6:7], -v[40:41]
	v_fma_f64 v[40:41], v[20:21], s[6:7], v[40:41]
	v_fma_f64 v[117:118], v[20:21], s[16:17], -v[4:5]
	v_fma_f64 v[4:5], v[20:21], s[16:17], v[4:5]
	v_fma_f64 v[20:21], v[20:21], s[18:19], v[36:37]
	v_mul_f64 v[16:17], v[16:17], s[24:25]
	v_add_f64 v[81:82], v[81:82], v[2:3]
	v_add_f64 v[44:45], v[44:45], v[2:3]
	v_mul_f64 v[105:106], v[34:35], s[26:27]
	v_mul_f64 v[107:108], v[34:35], s[30:31]
	;; [unrolled: 1-line block ×3, first 2 shown]
	v_add_f64 v[0:1], v[42:43], v[0:1]
	v_fma_f64 v[42:43], v[24:25], s[6:7], -v[83:84]
	v_fma_f64 v[83:84], v[24:25], s[6:7], v[83:84]
	v_add_f64 v[24:25], v[109:110], v[2:3]
	v_add_f64 v[109:110], v[111:112], v[2:3]
	;; [unrolled: 1-line block ×8, first 2 shown]
	v_fma_f64 v[117:118], v[26:27], s[16:17], -v[46:47]
	v_fma_f64 v[46:47], v[26:27], s[16:17], v[46:47]
	v_fma_f64 v[131:132], v[26:27], s[12:13], -v[16:17]
	v_fma_f64 v[16:17], v[26:27], s[12:13], v[16:17]
	v_add_f64 v[81:82], v[89:90], v[81:82]
	v_mul_f64 v[20:21], v[34:35], s[22:23]
	v_add_f64 v[0:1], v[38:39], v[0:1]
	v_fma_f64 v[38:39], v[26:27], s[10:11], -v[91:92]
	v_fma_f64 v[91:92], v[26:27], s[10:11], v[91:92]
	v_add_f64 v[24:25], v[42:43], v[24:25]
	v_add_f64 v[26:27], v[119:120], v[109:110]
	v_add_f64 v[42:43], v[121:122], v[111:112]
	v_add_f64 v[40:41], v[85:86], v[40:41]
	v_add_f64 v[85:86], v[123:124], v[113:114]
	v_add_f64 v[89:90], v[125:126], v[115:116]
	v_add_f64 v[4:5], v[12:13], v[4:5]
	v_add_f64 v[12:13], v[87:88], v[44:45]
	v_add_f64 v[2:3], v[83:84], v[2:3]
	v_fma_f64 v[44:45], v[28:29], s[12:13], v[97:98]
	v_fma_f64 v[83:84], v[28:29], s[10:11], -v[99:100]
	v_fma_f64 v[87:88], v[28:29], s[10:11], v[99:100]
	v_fma_f64 v[99:100], v[28:29], s[18:19], v[101:102]
	v_fma_f64 v[109:110], v[28:29], s[6:7], -v[22:23]
	v_fma_f64 v[22:23], v[28:29], s[6:7], v[22:23]
	v_add_f64 v[0:1], v[30:31], v[0:1]
	v_mul_f64 v[30:31], v[34:35], s[20:21]
	v_fma_f64 v[34:35], v[28:29], s[12:13], -v[97:98]
	v_fma_f64 v[97:98], v[28:29], s[18:19], -v[101:102]
	v_add_f64 v[24:25], v[38:39], v[24:25]
	v_add_f64 v[26:27], v[117:118], v[26:27]
	;; [unrolled: 1-line block ×3, first 2 shown]
	v_fma_f64 v[101:102], v[28:29], s[16:17], -v[103:104]
	v_fma_f64 v[103:104], v[28:29], s[16:17], v[103:104]
	v_add_f64 v[28:29], v[46:47], v[40:41]
	v_add_f64 v[40:41], v[129:130], v[85:86]
	;; [unrolled: 1-line block ×7, first 2 shown]
	v_fma_f64 v[16:17], v[32:33], s[16:17], -v[105:106]
	v_fma_f64 v[81:82], v[32:33], s[18:19], -v[107:108]
	v_fma_f64 v[85:86], v[32:33], s[18:19], v[107:108]
	v_fma_f64 v[89:90], v[32:33], s[12:13], -v[36:37]
	v_fma_f64 v[36:37], v[32:33], s[12:13], v[36:37]
	v_fma_f64 v[91:92], v[32:33], s[6:7], -v[20:21]
	v_add_f64 v[0:1], v[18:19], v[0:1]
	v_fma_f64 v[18:19], v[32:33], s[16:17], v[105:106]
	v_fma_f64 v[20:21], v[32:33], s[6:7], v[20:21]
	v_fma_f64 v[93:94], v[32:33], s[10:11], -v[30:31]
	v_fma_f64 v[30:31], v[32:33], s[10:11], v[30:31]
	v_add_f64 v[24:25], v[34:35], v[24:25]
	v_add_f64 v[26:27], v[83:84], v[26:27]
	v_add_f64 v[32:33], v[97:98], v[38:39]
	v_add_f64 v[28:29], v[87:88], v[28:29]
	v_add_f64 v[34:35], v[101:102], v[40:41]
	v_add_f64 v[40:41], v[109:110], v[46:47]
	v_add_f64 v[38:39], v[103:104], v[42:43]
	v_add_f64 v[4:5], v[22:23], v[4:5]
	v_add_f64 v[12:13], v[99:100], v[12:13]
	v_add_f64 v[2:3], v[44:45], v[2:3]
	v_add_f64 v[14:15], v[14:15], v[0:1]
	v_add_f64 v[16:17], v[16:17], v[24:25]
	v_add_f64 v[22:23], v[81:82], v[26:27]
	v_add_f64 v[24:25], v[89:90], v[32:33]
	v_add_f64 v[0:1], v[85:86], v[28:29]
	v_add_f64 v[26:27], v[91:92], v[34:35]
	v_add_f64 v[32:33], v[93:94], v[40:41]
	v_add_f64 v[28:29], v[20:21], v[38:39]
	v_add_f64 v[4:5], v[30:31], v[4:5]
	v_add_f64 v[20:21], v[36:37], v[12:13]
	v_add_f64 v[2:3], v[18:19], v[2:3]
	v_add_f64 v[6:7], v[6:7], v[14:15]
	ds_write2_b64 v76, v[22:23], v[24:25] offset0:2 offset1:3
	ds_write2_b64 v76, v[26:27], v[32:33] offset0:4 offset1:5
	;; [unrolled: 1-line block ×4, first 2 shown]
	ds_write_b64 v76, v[2:3] offset:80
	ds_write2_b64 v76, v[6:7], v[16:17] offset1:1
	s_waitcnt lgkmcnt(0)
	s_barrier
	buffer_gl0_inv
	ds_read2_b64 v[4:7], v75 offset0:11 offset1:15
	ds_read2_b64 v[16:19], v75 offset0:22 offset1:26
	;; [unrolled: 1-line block ×3, first 2 shown]
	ds_read_b64 v[28:29], v77
	ds_read_b64 v[26:27], v78
                                        ; implicit-def: $vgpr22_vgpr23
	s_and_saveexec_b32 s6, s1
	s_cbranch_execz .LBB0_17
; %bb.16:
	v_add3_u32 v20, 0, v80, v79
	ds_read2_b64 v[0:3], v75 offset0:19 offset1:30
	ds_read_b64 v[20:21], v20
	ds_read_b64 v[22:23], v75 offset:328
.LBB0_17:
	s_or_b32 exec_lo, exec_lo, s6
	s_and_saveexec_b32 s1, vcc_lo
	s_cbranch_execz .LBB0_20
; %bb.18:
	v_mul_i32_i24_e32 v24, 3, v74
	v_mov_b32_e32 v25, 0
	v_mul_u32_u24_e32 v32, 3, v72
	v_add_nc_u32_e32 v47, 4, v72
	v_mul_lo_u32 v45, s4, v63
	v_lshlrev_b64 v[30:31], 4, v[24:25]
	v_lshlrev_b32_e32 v24, 4, v32
	v_mul_hi_u32 v46, 0xba2e8ba3, v47
	v_add_co_u32 v30, vcc_lo, s8, v30
	v_add_co_ci_u32_e32 v31, vcc_lo, s9, v31, vcc_lo
	s_clause 0x5
	global_load_dwordx4 v[33:36], v24, s[8:9] offset:16
	global_load_dwordx4 v[37:40], v24, s[8:9] offset:32
	global_load_dwordx4 v[41:44], v[30:31], off offset:16
	global_load_dwordx4 v[74:77], v[30:31], off
	global_load_dwordx4 v[78:81], v[30:31], off offset:32
	global_load_dwordx4 v[82:85], v24, s[8:9]
	v_mul_hi_u32 v30, 0xba2e8ba3, v72
	v_mul_lo_u32 v24, s5, v62
	v_mad_u64_u32 v[31:32], null, s4, v62, 0
	v_lshrrev_b32_e32 v90, 3, v46
	v_lshrrev_b32_e32 v30, 3, v30
	v_mul_lo_u32 v62, v90, 11
	v_add3_u32 v32, v32, v45, v24
	v_lshlrev_b64 v[45:46], 4, v[60:61]
	v_mul_lo_u32 v24, v30, 11
	v_add_nc_u32_e32 v30, 8, v72
	v_lshlrev_b64 v[31:32], 4, v[31:32]
	v_cmp_gt_u32_e32 vcc_lo, 11, v30
	v_sub_nc_u32_e32 v103, v72, v24
	v_sub_nc_u32_e32 v24, v47, v62
	v_add_co_u32 v31, s1, s14, v31
	v_add_co_ci_u32_e64 v32, s1, s15, v32, s1
	v_mad_u64_u32 v[90:91], null, v90, 44, v[24:25]
	v_mad_u64_u32 v[60:61], null, s2, v103, 0
	v_add_nc_u32_e32 v105, 11, v103
	v_add_co_u32 v31, s1, v31, v45
	v_add_co_ci_u32_e64 v32, s1, v32, v46, s1
	v_mad_u64_u32 v[62:63], null, s2, v105, 0
	v_mov_b32_e32 v24, v61
	v_add_nc_u32_e32 v106, 22, v103
	v_add_nc_u32_e32 v107, 33, v103
	v_mad_u64_u32 v[45:46], null, s3, v103, v[24:25]
	v_mov_b32_e32 v24, v63
	v_mad_u64_u32 v[86:87], null, s2, v106, 0
	v_mad_u64_u32 v[88:89], null, s2, v107, 0
	;; [unrolled: 1-line block ×3, first 2 shown]
	v_mov_b32_e32 v61, v45
	v_mov_b32_e32 v46, v87
	;; [unrolled: 1-line block ×3, first 2 shown]
	s_waitcnt vmcnt(5)
	v_mul_f64 v[91:92], v[48:49], v[35:36]
	s_waitcnt vmcnt(4)
	v_mul_f64 v[93:94], v[56:57], v[37:38]
	s_waitcnt lgkmcnt(3)
	v_mul_f64 v[35:36], v[16:17], v[35:36]
	v_mul_f64 v[56:57], v[56:57], v[39:40]
	s_waitcnt vmcnt(3)
	v_mul_f64 v[95:96], v[50:51], v[43:44]
	s_waitcnt vmcnt(0)
	v_mul_f64 v[101:102], v[52:53], v[84:85]
	v_mul_f64 v[52:53], v[52:53], v[82:83]
	;; [unrolled: 1-line block ×7, first 2 shown]
	v_fma_f64 v[16:17], v[16:17], v[33:34], -v[91:92]
	s_waitcnt lgkmcnt(2)
	v_fma_f64 v[39:40], v[12:13], v[39:40], v[93:94]
	v_fma_f64 v[33:34], v[48:49], v[33:34], v[35:36]
	v_fma_f64 v[12:13], v[12:13], v[37:38], -v[56:57]
	v_fma_f64 v[18:19], v[18:19], v[41:42], -v[95:96]
	;; [unrolled: 1-line block ×3, first 2 shown]
	v_fma_f64 v[4:5], v[4:5], v[84:85], v[52:53]
	v_fma_f64 v[35:36], v[6:7], v[76:77], v[97:98]
	;; [unrolled: 1-line block ×4, first 2 shown]
	v_fma_f64 v[6:7], v[6:7], v[74:75], -v[54:55]
	v_fma_f64 v[14:15], v[14:15], v[78:79], -v[58:59]
	v_mad_u64_u32 v[43:44], null, s3, v105, v[24:25]
	v_mad_u64_u32 v[50:51], null, s3, v106, v[46:47]
	v_add_nc_u32_e32 v78, 11, v90
	v_add_nc_u32_e32 v79, 22, v90
	;; [unrolled: 1-line block ×3, first 2 shown]
	v_lshlrev_b64 v[57:58], 4, v[60:61]
	v_mov_b32_e32 v63, v43
	v_mad_u64_u32 v[51:52], null, s2, v78, 0
	s_waitcnt lgkmcnt(1)
	v_add_f64 v[44:45], v[28:29], -v[16:17]
	v_add_f64 v[33:34], v[70:71], -v[33:34]
	v_mov_b32_e32 v87, v50
	s_waitcnt lgkmcnt(0)
	v_add_f64 v[55:56], v[26:27], -v[18:19]
	v_add_f64 v[12:13], v[48:49], -v[12:13]
	;; [unrolled: 1-line block ×3, first 2 shown]
	v_mad_u64_u32 v[53:54], null, s2, v79, 0
	v_add_f64 v[16:17], v[35:36], -v[37:38]
	v_add_f64 v[41:42], v[68:69], -v[41:42]
	;; [unrolled: 1-line block ×3, first 2 shown]
	v_mov_b32_e32 v14, v104
	v_mad_u64_u32 v[39:40], null, s2, v80, 0
	v_mov_b32_e32 v24, v54
	v_mad_u64_u32 v[46:47], null, s3, v107, v[47:48]
	v_mad_u64_u32 v[14:15], null, s3, v90, v[14:15]
	v_mov_b32_e32 v15, v52
	v_lshlrev_b64 v[59:60], 4, v[86:87]
	v_add_co_u32 v57, s1, v31, v57
	v_fma_f64 v[74:75], v[28:29], 2.0, -v[44:45]
	v_fma_f64 v[70:71], v[70:71], 2.0, -v[33:34]
	;; [unrolled: 1-line block ×5, first 2 shown]
	v_mov_b32_e32 v104, v14
	v_add_f64 v[12:13], v[33:34], v[12:13]
	v_fma_f64 v[35:36], v[35:36], 2.0, -v[16:17]
	v_fma_f64 v[49:50], v[68:69], 2.0, -v[41:42]
	;; [unrolled: 1-line block ×3, first 2 shown]
	v_mad_u64_u32 v[68:69], null, s3, v78, v[15:16]
	v_add_f64 v[6:7], v[55:56], -v[16:17]
	v_add_f64 v[14:15], v[44:45], -v[18:19]
	v_mad_u64_u32 v[78:79], null, s3, v79, v[24:25]
	v_mad_u64_u32 v[79:80], null, s3, v80, v[40:41]
	v_mov_b32_e32 v89, v46
	v_lshlrev_b64 v[46:47], 4, v[62:63]
	v_add_co_ci_u32_e64 v58, s1, v32, v58, s1
	v_mov_b32_e32 v54, v78
	v_lshlrev_b64 v[61:62], 4, v[88:89]
	v_mov_b32_e32 v40, v79
	v_add_f64 v[18:19], v[74:75], -v[26:27]
	v_add_f64 v[16:17], v[70:71], -v[4:5]
	v_add_f64 v[4:5], v[41:42], v[37:38]
	v_fma_f64 v[33:34], v[33:34], 2.0, -v[12:13]
	v_lshlrev_b64 v[78:79], 4, v[39:40]
	v_add_f64 v[26:27], v[49:50], -v[35:36]
	v_add_f64 v[28:29], v[76:77], -v[28:29]
	v_add_co_u32 v80, s1, v31, v46
	v_mov_b32_e32 v52, v68
	v_fma_f64 v[35:36], v[44:45], 2.0, -v[14:15]
	v_add_co_ci_u32_e64 v81, s1, v32, v47, s1
	v_add_co_u32 v59, s1, v31, v59
	v_lshlrev_b64 v[68:69], 4, v[103:104]
	v_fma_f64 v[43:44], v[55:56], 2.0, -v[6:7]
	v_add_co_ci_u32_e64 v60, s1, v32, v60, s1
	v_add_co_u32 v61, s1, v31, v61
	v_lshlrev_b64 v[51:52], 4, v[51:52]
	v_fma_f64 v[39:40], v[74:75], 2.0, -v[18:19]
	v_fma_f64 v[37:38], v[70:71], 2.0, -v[16:17]
	;; [unrolled: 1-line block ×3, first 2 shown]
	v_add_co_ci_u32_e64 v62, s1, v32, v62, s1
	v_fma_f64 v[45:46], v[49:50], 2.0, -v[26:27]
	v_fma_f64 v[47:48], v[76:77], 2.0, -v[28:29]
	v_lshlrev_b64 v[53:54], 4, v[53:54]
	v_add_co_u32 v49, s1, v31, v68
	v_add_co_ci_u32_e64 v50, s1, v32, v69, s1
	v_add_co_u32 v51, s1, v31, v51
	v_add_co_ci_u32_e64 v52, s1, v32, v52, s1
	;; [unrolled: 2-line block ×4, first 2 shown]
	global_store_dwordx4 v[57:58], v[37:40], off
	global_store_dwordx4 v[80:81], v[33:36], off
	;; [unrolled: 1-line block ×8, first 2 shown]
	s_and_b32 exec_lo, exec_lo, vcc_lo
	s_cbranch_execz .LBB0_20
; %bb.19:
	v_mul_i32_i24_e32 v4, 3, v73
	v_cndmask_b32_e64 v24, v4, 0, s0
	v_lshlrev_b64 v[4:5], 4, v[24:25]
	v_add_co_u32 v16, vcc_lo, s8, v4
	v_add_co_ci_u32_e32 v17, vcc_lo, s9, v5, vcc_lo
	s_clause 0x2
	global_load_dwordx4 v[4:7], v[16:17], off
	global_load_dwordx4 v[12:15], v[16:17], off offset:16
	global_load_dwordx4 v[16:19], v[16:17], off offset:32
	s_waitcnt vmcnt(2)
	v_mul_f64 v[24:25], v[0:1], v[6:7]
	v_mul_f64 v[6:7], v[8:9], v[6:7]
	s_waitcnt vmcnt(1)
	v_mul_f64 v[26:27], v[2:3], v[14:15]
	v_mul_f64 v[14:15], v[10:11], v[14:15]
	;; [unrolled: 3-line block ×3, first 2 shown]
	v_fma_f64 v[8:9], v[8:9], v[4:5], v[24:25]
	v_fma_f64 v[0:1], v[0:1], v[4:5], -v[6:7]
	v_fma_f64 v[4:5], v[10:11], v[12:13], v[26:27]
	v_fma_f64 v[2:3], v[2:3], v[12:13], -v[14:15]
	;; [unrolled: 2-line block ×3, first 2 shown]
	v_add_nc_u32_e32 v26, 19, v72
	v_add_nc_u32_e32 v27, 30, v72
	;; [unrolled: 1-line block ×3, first 2 shown]
	v_mad_u64_u32 v[18:19], null, s2, v30, 0
	v_mad_u64_u32 v[22:23], null, s2, v27, 0
	;; [unrolled: 1-line block ×3, first 2 shown]
	v_add_f64 v[12:13], v[64:65], -v[4:5]
	v_add_f64 v[16:17], v[20:21], -v[2:3]
	;; [unrolled: 1-line block ×4, first 2 shown]
	v_fma_f64 v[10:11], v[64:65], 2.0, -v[12:13]
	v_fma_f64 v[14:15], v[20:21], 2.0, -v[16:17]
	;; [unrolled: 1-line block ×4, first 2 shown]
	v_add_f64 v[0:1], v[12:13], v[4:5]
	v_add_f64 v[2:3], v[16:17], -v[2:3]
	v_mad_u64_u32 v[20:21], null, s2, v26, 0
	v_add_f64 v[4:5], v[10:11], -v[6:7]
	v_add_f64 v[6:7], v[14:15], -v[8:9]
	v_mad_u64_u32 v[8:9], null, s3, v30, v[19:20]
	v_mov_b32_e32 v9, v23
	v_mov_b32_e32 v19, v25
	v_mad_u64_u32 v[25:26], null, s3, v26, v[21:22]
	v_mad_u64_u32 v[26:27], null, s3, v27, v[9:10]
	;; [unrolled: 1-line block ×3, first 2 shown]
	v_mov_b32_e32 v19, v8
	v_fma_f64 v[8:9], v[12:13], 2.0, -v[0:1]
	v_mov_b32_e32 v21, v25
	v_mov_b32_e32 v23, v26
	v_lshlrev_b64 v[18:19], 4, v[18:19]
	v_mov_b32_e32 v25, v27
	v_fma_f64 v[12:13], v[10:11], 2.0, -v[4:5]
	v_fma_f64 v[14:15], v[14:15], 2.0, -v[6:7]
	;; [unrolled: 1-line block ×3, first 2 shown]
	v_lshlrev_b64 v[16:17], 4, v[20:21]
	v_lshlrev_b64 v[20:21], 4, v[22:23]
	v_add_co_u32 v18, vcc_lo, v31, v18
	v_add_co_ci_u32_e32 v19, vcc_lo, v32, v19, vcc_lo
	v_lshlrev_b64 v[22:23], 4, v[24:25]
	v_add_co_u32 v16, vcc_lo, v31, v16
	v_add_co_ci_u32_e32 v17, vcc_lo, v32, v17, vcc_lo
	v_add_co_u32 v20, vcc_lo, v31, v20
	v_add_co_ci_u32_e32 v21, vcc_lo, v32, v21, vcc_lo
	;; [unrolled: 2-line block ×3, first 2 shown]
	global_store_dwordx4 v[18:19], v[12:15], off
	global_store_dwordx4 v[16:17], v[8:11], off
	;; [unrolled: 1-line block ×4, first 2 shown]
.LBB0_20:
	s_endpgm
	.section	.rodata,"a",@progbits
	.p2align	6, 0x0
	.amdhsa_kernel fft_rtc_back_len44_factors_11_4_wgs_64_tpt_4_halfLds_dp_op_CI_CI_sbrr_dirReg
		.amdhsa_group_segment_fixed_size 0
		.amdhsa_private_segment_fixed_size 0
		.amdhsa_kernarg_size 104
		.amdhsa_user_sgpr_count 6
		.amdhsa_user_sgpr_private_segment_buffer 1
		.amdhsa_user_sgpr_dispatch_ptr 0
		.amdhsa_user_sgpr_queue_ptr 0
		.amdhsa_user_sgpr_kernarg_segment_ptr 1
		.amdhsa_user_sgpr_dispatch_id 0
		.amdhsa_user_sgpr_flat_scratch_init 0
		.amdhsa_user_sgpr_private_segment_size 0
		.amdhsa_wavefront_size32 1
		.amdhsa_uses_dynamic_stack 0
		.amdhsa_system_sgpr_private_segment_wavefront_offset 0
		.amdhsa_system_sgpr_workgroup_id_x 1
		.amdhsa_system_sgpr_workgroup_id_y 0
		.amdhsa_system_sgpr_workgroup_id_z 0
		.amdhsa_system_sgpr_workgroup_info 0
		.amdhsa_system_vgpr_workitem_id 0
		.amdhsa_next_free_vgpr 139
		.amdhsa_next_free_sgpr 40
		.amdhsa_reserve_vcc 1
		.amdhsa_reserve_flat_scratch 0
		.amdhsa_float_round_mode_32 0
		.amdhsa_float_round_mode_16_64 0
		.amdhsa_float_denorm_mode_32 3
		.amdhsa_float_denorm_mode_16_64 3
		.amdhsa_dx10_clamp 1
		.amdhsa_ieee_mode 1
		.amdhsa_fp16_overflow 0
		.amdhsa_workgroup_processor_mode 1
		.amdhsa_memory_ordered 1
		.amdhsa_forward_progress 0
		.amdhsa_shared_vgpr_count 0
		.amdhsa_exception_fp_ieee_invalid_op 0
		.amdhsa_exception_fp_denorm_src 0
		.amdhsa_exception_fp_ieee_div_zero 0
		.amdhsa_exception_fp_ieee_overflow 0
		.amdhsa_exception_fp_ieee_underflow 0
		.amdhsa_exception_fp_ieee_inexact 0
		.amdhsa_exception_int_div_zero 0
	.end_amdhsa_kernel
	.text
.Lfunc_end0:
	.size	fft_rtc_back_len44_factors_11_4_wgs_64_tpt_4_halfLds_dp_op_CI_CI_sbrr_dirReg, .Lfunc_end0-fft_rtc_back_len44_factors_11_4_wgs_64_tpt_4_halfLds_dp_op_CI_CI_sbrr_dirReg
                                        ; -- End function
	.section	.AMDGPU.csdata,"",@progbits
; Kernel info:
; codeLenInByte = 6608
; NumSgprs: 42
; NumVgprs: 139
; ScratchSize: 0
; MemoryBound: 1
; FloatMode: 240
; IeeeMode: 1
; LDSByteSize: 0 bytes/workgroup (compile time only)
; SGPRBlocks: 5
; VGPRBlocks: 17
; NumSGPRsForWavesPerEU: 42
; NumVGPRsForWavesPerEU: 139
; Occupancy: 7
; WaveLimiterHint : 1
; COMPUTE_PGM_RSRC2:SCRATCH_EN: 0
; COMPUTE_PGM_RSRC2:USER_SGPR: 6
; COMPUTE_PGM_RSRC2:TRAP_HANDLER: 0
; COMPUTE_PGM_RSRC2:TGID_X_EN: 1
; COMPUTE_PGM_RSRC2:TGID_Y_EN: 0
; COMPUTE_PGM_RSRC2:TGID_Z_EN: 0
; COMPUTE_PGM_RSRC2:TIDIG_COMP_CNT: 0
	.text
	.p2alignl 6, 3214868480
	.fill 48, 4, 3214868480
	.type	__hip_cuid_7f3ade84fb616fe0,@object ; @__hip_cuid_7f3ade84fb616fe0
	.section	.bss,"aw",@nobits
	.globl	__hip_cuid_7f3ade84fb616fe0
__hip_cuid_7f3ade84fb616fe0:
	.byte	0                               ; 0x0
	.size	__hip_cuid_7f3ade84fb616fe0, 1

	.ident	"AMD clang version 19.0.0git (https://github.com/RadeonOpenCompute/llvm-project roc-6.4.0 25133 c7fe45cf4b819c5991fe208aaa96edf142730f1d)"
	.section	".note.GNU-stack","",@progbits
	.addrsig
	.addrsig_sym __hip_cuid_7f3ade84fb616fe0
	.amdgpu_metadata
---
amdhsa.kernels:
  - .args:
      - .actual_access:  read_only
        .address_space:  global
        .offset:         0
        .size:           8
        .value_kind:     global_buffer
      - .offset:         8
        .size:           8
        .value_kind:     by_value
      - .actual_access:  read_only
        .address_space:  global
        .offset:         16
        .size:           8
        .value_kind:     global_buffer
      - .actual_access:  read_only
        .address_space:  global
        .offset:         24
        .size:           8
        .value_kind:     global_buffer
      - .actual_access:  read_only
        .address_space:  global
        .offset:         32
        .size:           8
        .value_kind:     global_buffer
      - .offset:         40
        .size:           8
        .value_kind:     by_value
      - .actual_access:  read_only
        .address_space:  global
        .offset:         48
        .size:           8
        .value_kind:     global_buffer
      - .actual_access:  read_only
        .address_space:  global
        .offset:         56
        .size:           8
        .value_kind:     global_buffer
      - .offset:         64
        .size:           4
        .value_kind:     by_value
      - .actual_access:  read_only
        .address_space:  global
        .offset:         72
        .size:           8
        .value_kind:     global_buffer
      - .actual_access:  read_only
        .address_space:  global
        .offset:         80
        .size:           8
        .value_kind:     global_buffer
      - .actual_access:  read_only
        .address_space:  global
        .offset:         88
        .size:           8
        .value_kind:     global_buffer
      - .actual_access:  write_only
        .address_space:  global
        .offset:         96
        .size:           8
        .value_kind:     global_buffer
    .group_segment_fixed_size: 0
    .kernarg_segment_align: 8
    .kernarg_segment_size: 104
    .language:       OpenCL C
    .language_version:
      - 2
      - 0
    .max_flat_workgroup_size: 64
    .name:           fft_rtc_back_len44_factors_11_4_wgs_64_tpt_4_halfLds_dp_op_CI_CI_sbrr_dirReg
    .private_segment_fixed_size: 0
    .sgpr_count:     42
    .sgpr_spill_count: 0
    .symbol:         fft_rtc_back_len44_factors_11_4_wgs_64_tpt_4_halfLds_dp_op_CI_CI_sbrr_dirReg.kd
    .uniform_work_group_size: 1
    .uses_dynamic_stack: false
    .vgpr_count:     139
    .vgpr_spill_count: 0
    .wavefront_size: 32
    .workgroup_processor_mode: 1
amdhsa.target:   amdgcn-amd-amdhsa--gfx1030
amdhsa.version:
  - 1
  - 2
...

	.end_amdgpu_metadata
